;; amdgpu-corpus repo=ROCm/MIOpen kind=compiled arch=gfx1100 opt=O3
	.text
	.amdgcn_target "amdgcn-amd-amdhsa--gfx1100"
	.amdhsa_code_object_version 6
	.protected	gridwise_generic_reduce_2_prepare ; -- Begin function gridwise_generic_reduce_2_prepare
	.globl	gridwise_generic_reduce_2_prepare
	.p2align	8
	.type	gridwise_generic_reduce_2_prepare,@function
gridwise_generic_reduce_2_prepare:      ; @gridwise_generic_reduce_2_prepare
; %bb.0:
	s_mov_b32 s2, exec_lo
	v_cmpx_eq_u32_e32 0, v0
	s_cbranch_execz .LBB0_2
; %bb.1:
	s_clause 0x1
	s_load_b32 s4, s[0:1], 0x4
	s_load_b64 s[0:1], s[0:1], 0x8
	s_getpc_b64 s[2:3]
	s_add_u32 s2, s2, __const.gridwise_generic_reduce_2_prepare.dstDesc@rel32@lo+8
	s_addc_u32 s3, s3, __const.gridwise_generic_reduce_2_prepare.dstDesc@rel32@hi+16
	v_mov_b32_e32 v4, 0
	s_load_b64 s[2:3], s[2:3], 0x0
	s_waitcnt lgkmcnt(0)
	v_dual_mov_b32 v0, 1 :: v_dual_mov_b32 v1, s4
	v_mov_b32_e32 v2, s4
	s_clause 0x1
	global_store_b96 v4, v[0:2], s[0:1]
	global_store_b64 v4, v[1:2], s[0:1] offset:16
	v_mov_b32_e32 v1, s2
	v_dual_mov_b32 v3, v0 :: v_dual_mov_b32 v2, s3
	global_store_b128 v4, v[0:3], s[0:1] offset:2048
.LBB0_2:
	s_nop 0
	s_sendmsg sendmsg(MSG_DEALLOC_VGPRS)
	s_endpgm
	.section	.rodata,"a",@progbits
	.p2align	6, 0x0
	.amdhsa_kernel gridwise_generic_reduce_2_prepare
		.amdhsa_group_segment_fixed_size 0
		.amdhsa_private_segment_fixed_size 0
		.amdhsa_kernarg_size 16
		.amdhsa_user_sgpr_count 15
		.amdhsa_user_sgpr_dispatch_ptr 0
		.amdhsa_user_sgpr_queue_ptr 0
		.amdhsa_user_sgpr_kernarg_segment_ptr 1
		.amdhsa_user_sgpr_dispatch_id 0
		.amdhsa_user_sgpr_private_segment_size 0
		.amdhsa_wavefront_size32 1
		.amdhsa_uses_dynamic_stack 0
		.amdhsa_enable_private_segment 0
		.amdhsa_system_sgpr_workgroup_id_x 1
		.amdhsa_system_sgpr_workgroup_id_y 0
		.amdhsa_system_sgpr_workgroup_id_z 0
		.amdhsa_system_sgpr_workgroup_info 0
		.amdhsa_system_vgpr_workitem_id 0
		.amdhsa_next_free_vgpr 5
		.amdhsa_next_free_sgpr 5
		.amdhsa_reserve_vcc 0
		.amdhsa_float_round_mode_32 0
		.amdhsa_float_round_mode_16_64 0
		.amdhsa_float_denorm_mode_32 3
		.amdhsa_float_denorm_mode_16_64 3
		.amdhsa_dx10_clamp 1
		.amdhsa_ieee_mode 1
		.amdhsa_fp16_overflow 0
		.amdhsa_workgroup_processor_mode 1
		.amdhsa_memory_ordered 1
		.amdhsa_forward_progress 0
		.amdhsa_shared_vgpr_count 0
		.amdhsa_exception_fp_ieee_invalid_op 0
		.amdhsa_exception_fp_denorm_src 0
		.amdhsa_exception_fp_ieee_div_zero 0
		.amdhsa_exception_fp_ieee_overflow 0
		.amdhsa_exception_fp_ieee_underflow 0
		.amdhsa_exception_fp_ieee_inexact 0
		.amdhsa_exception_int_div_zero 0
	.end_amdhsa_kernel
	.text
.Lfunc_end0:
	.size	gridwise_generic_reduce_2_prepare, .Lfunc_end0-gridwise_generic_reduce_2_prepare
                                        ; -- End function
	.section	.AMDGPU.csdata,"",@progbits
; Kernel info:
; codeLenInByte = 132
; NumSgprs: 5
; NumVgprs: 5
; ScratchSize: 0
; MemoryBound: 0
; FloatMode: 240
; IeeeMode: 1
; LDSByteSize: 0 bytes/workgroup (compile time only)
; SGPRBlocks: 0
; VGPRBlocks: 0
; NumSGPRsForWavesPerEU: 5
; NumVGPRsForWavesPerEU: 5
; Occupancy: 16
; WaveLimiterHint : 1
; COMPUTE_PGM_RSRC2:SCRATCH_EN: 0
; COMPUTE_PGM_RSRC2:USER_SGPR: 15
; COMPUTE_PGM_RSRC2:TRAP_HANDLER: 0
; COMPUTE_PGM_RSRC2:TGID_X_EN: 1
; COMPUTE_PGM_RSRC2:TGID_Y_EN: 0
; COMPUTE_PGM_RSRC2:TGID_Z_EN: 0
; COMPUTE_PGM_RSRC2:TIDIG_COMP_CNT: 0
	.text
	.protected	gridwise_generic_reduce_2 ; -- Begin function gridwise_generic_reduce_2
	.globl	gridwise_generic_reduce_2
	.p2align	8
	.type	gridwise_generic_reduce_2,@function
gridwise_generic_reduce_2:              ; @gridwise_generic_reduce_2
; %bb.0:
	s_load_b128 s[4:7], s[0:1], 0x18
	v_lshl_add_u32 v0, s15, 8, v0
	s_waitcnt lgkmcnt(0)
	s_load_b32 s2, s[6:7], 0x4
	s_waitcnt lgkmcnt(0)
	s_cmp_lt_i32 s2, 1
	s_cbranch_scc1 .LBB1_3
; %bb.1:
	s_clause 0x1
	s_load_b32 s3, s[6:7], 0x8
	s_load_b32 s10, s[6:7], 0x14
	s_add_u32 s8, s6, 0x1000
	s_addc_u32 s9, s7, 0
	s_mov_b32 s11, 0x20000
	s_waitcnt lgkmcnt(0)
	v_mul_lo_u32 v1, s3, v0
	s_lshl_b32 s10, s10, 2
	s_mov_b32 s3, 0
	s_delay_alu instid0(VALU_DEP_1)
	v_lshl_add_u32 v2, v1, 2, 28
	v_mov_b32_e32 v1, 0
	s_set_inst_prefetch_distance 0x1
	.p2align	6
.LBB1_2:                                ; =>This Inner Loop Header: Depth=1
	s_delay_alu instid0(VALU_DEP_2)
	v_subrev_nc_u32_e32 v3, 28, v2
	v_subrev_nc_u32_e32 v4, 24, v2
	;; [unrolled: 1-line block ×3, first 2 shown]
	v_add_nc_u32_e32 v7, -12, v2
	v_add_nc_u32_e32 v9, -4, v2
	s_clause 0x2
	buffer_load_b32 v3, v3, s[8:11], 0 offen
	buffer_load_b32 v4, v4, s[8:11], 0 offen
	;; [unrolled: 1-line block ×3, first 2 shown]
	v_add_nc_u32_e32 v6, -16, v2
	s_add_i32 s3, s3, 8
	buffer_load_b32 v7, v7, s[8:11], 0 offen
	s_cmp_ge_i32 s3, s2
	buffer_load_b32 v6, v6, s[8:11], 0 offen
	s_waitcnt vmcnt(4)
	v_dual_add_f32 v1, v1, v3 :: v_dual_add_nc_u32 v8, -8, v2
	s_waitcnt vmcnt(3)
	s_delay_alu instid0(VALU_DEP_1)
	v_add_f32_e32 v1, v1, v4
	s_clause 0x2
	buffer_load_b32 v8, v8, s[8:11], 0 offen
	buffer_load_b32 v9, v9, s[8:11], 0 offen
	;; [unrolled: 1-line block ×3, first 2 shown]
	s_waitcnt vmcnt(5)
	v_dual_add_f32 v1, v1, v5 :: v_dual_add_nc_u32 v2, 32, v2
	s_waitcnt vmcnt(3)
	s_delay_alu instid0(VALU_DEP_1) | instskip(NEXT) | instid1(VALU_DEP_1)
	v_add_f32_e32 v1, v1, v6
	v_add_f32_e32 v1, v1, v7
	s_waitcnt vmcnt(2)
	s_delay_alu instid0(VALU_DEP_1) | instskip(SKIP_1) | instid1(VALU_DEP_1)
	v_add_f32_e32 v1, v1, v8
	s_waitcnt vmcnt(1)
	v_add_f32_e32 v1, v1, v9
	s_waitcnt vmcnt(0)
	s_delay_alu instid0(VALU_DEP_1)
	v_add_f32_e32 v1, v1, v10
	s_cbranch_scc0 .LBB1_2
	s_branch .LBB1_4
.LBB1_3:
	v_mov_b32_e32 v1, 0
.LBB1_4:
	s_set_inst_prefetch_distance 0x2
	s_clause 0x1
	s_load_b32 s3, s[6:7], 0x804
	s_load_b32 s2, s[6:7], 0x80c
	s_clause 0x1
	s_load_b32 s6, s[0:1], 0x4
	s_load_b32 s1, s[0:1], 0x10
	s_waitcnt lgkmcnt(0)
	v_mul_lo_u32 v3, s3, v0
	v_mul_f32_e32 v0, s6, v1
	v_cmp_eq_f32_e64 vcc_lo, s6, 1.0
	v_cmp_neq_f32_e64 s0, s1, 0
	s_delay_alu instid0(VALU_DEP_3) | instskip(SKIP_1) | instid1(VALU_DEP_3)
	v_cndmask_b32_e32 v0, v0, v1, vcc_lo
	v_lshlrev_b32_e32 v2, 2, v3
	s_and_b32 vcc_lo, exec_lo, s0
	s_mov_b32 s0, 0
	s_cbranch_vccz .LBB1_8
; %bb.5:
	v_lshlrev_b32_e32 v1, 2, v3
	s_lshl_b32 s6, s2, 2
	s_mov_b32 s7, 0x20000
	buffer_load_b32 v3, v1, s[4:7], 0 offen
	s_waitcnt vmcnt(0)
	v_fma_f32 v3, s1, v3, v0
	s_and_not1_b32 vcc_lo, exec_lo, s0
	s_cbranch_vccnz .LBB1_7
.LBB1_6:
	v_mov_b32_e32 v1, v2
	v_mov_b32_e32 v3, v0
	s_lshl_b32 s6, s2, 2
.LBB1_7:
	s_mov_b32 s7, 0x20000
	buffer_store_b32 v3, v1, s[4:7], 0 offen
	s_nop 0
	s_sendmsg sendmsg(MSG_DEALLOC_VGPRS)
	s_endpgm
.LBB1_8:
                                        ; implicit-def: $vgpr3
                                        ; implicit-def: $vgpr1
	s_branch .LBB1_6
	.section	.rodata,"a",@progbits
	.p2align	6, 0x0
	.amdhsa_kernel gridwise_generic_reduce_2
		.amdhsa_group_segment_fixed_size 0
		.amdhsa_private_segment_fixed_size 0
		.amdhsa_kernarg_size 56
		.amdhsa_user_sgpr_count 15
		.amdhsa_user_sgpr_dispatch_ptr 0
		.amdhsa_user_sgpr_queue_ptr 0
		.amdhsa_user_sgpr_kernarg_segment_ptr 1
		.amdhsa_user_sgpr_dispatch_id 0
		.amdhsa_user_sgpr_private_segment_size 0
		.amdhsa_wavefront_size32 1
		.amdhsa_uses_dynamic_stack 0
		.amdhsa_enable_private_segment 0
		.amdhsa_system_sgpr_workgroup_id_x 1
		.amdhsa_system_sgpr_workgroup_id_y 0
		.amdhsa_system_sgpr_workgroup_id_z 0
		.amdhsa_system_sgpr_workgroup_info 0
		.amdhsa_system_vgpr_workitem_id 0
		.amdhsa_next_free_vgpr 11
		.amdhsa_next_free_sgpr 16
		.amdhsa_reserve_vcc 1
		.amdhsa_float_round_mode_32 0
		.amdhsa_float_round_mode_16_64 0
		.amdhsa_float_denorm_mode_32 3
		.amdhsa_float_denorm_mode_16_64 3
		.amdhsa_dx10_clamp 1
		.amdhsa_ieee_mode 1
		.amdhsa_fp16_overflow 0
		.amdhsa_workgroup_processor_mode 1
		.amdhsa_memory_ordered 1
		.amdhsa_forward_progress 0
		.amdhsa_shared_vgpr_count 0
		.amdhsa_exception_fp_ieee_invalid_op 0
		.amdhsa_exception_fp_denorm_src 0
		.amdhsa_exception_fp_ieee_div_zero 0
		.amdhsa_exception_fp_ieee_overflow 0
		.amdhsa_exception_fp_ieee_underflow 0
		.amdhsa_exception_fp_ieee_inexact 0
		.amdhsa_exception_int_div_zero 0
	.end_amdhsa_kernel
	.text
.Lfunc_end1:
	.size	gridwise_generic_reduce_2, .Lfunc_end1-gridwise_generic_reduce_2
                                        ; -- End function
	.section	.AMDGPU.csdata,"",@progbits
; Kernel info:
; codeLenInByte = 512
; NumSgprs: 18
; NumVgprs: 11
; ScratchSize: 0
; MemoryBound: 0
; FloatMode: 240
; IeeeMode: 1
; LDSByteSize: 0 bytes/workgroup (compile time only)
; SGPRBlocks: 2
; VGPRBlocks: 1
; NumSGPRsForWavesPerEU: 18
; NumVGPRsForWavesPerEU: 11
; Occupancy: 16
; WaveLimiterHint : 1
; COMPUTE_PGM_RSRC2:SCRATCH_EN: 0
; COMPUTE_PGM_RSRC2:USER_SGPR: 15
; COMPUTE_PGM_RSRC2:TRAP_HANDLER: 0
; COMPUTE_PGM_RSRC2:TGID_X_EN: 1
; COMPUTE_PGM_RSRC2:TGID_Y_EN: 0
; COMPUTE_PGM_RSRC2:TGID_Z_EN: 0
; COMPUTE_PGM_RSRC2:TIDIG_COMP_CNT: 0
	.text
	.p2alignl 7, 3214868480
	.fill 96, 4, 3214868480
	.type	__const.gridwise_generic_reduce_2_prepare.dstDesc,@object ; @__const.gridwise_generic_reduce_2_prepare.dstDesc
	.section	.rodata.cst16,"aM",@progbits,16
	.p2align	2, 0x0
__const.gridwise_generic_reduce_2_prepare.dstDesc:
	.long	1                               ; 0x1
	.long	1                               ; 0x1
	;; [unrolled: 1-line block ×4, first 2 shown]
	.size	__const.gridwise_generic_reduce_2_prepare.dstDesc, 16

	.type	__hip_cuid_39e015910ad1dae1,@object ; @__hip_cuid_39e015910ad1dae1
	.section	.bss,"aw",@nobits
	.globl	__hip_cuid_39e015910ad1dae1
__hip_cuid_39e015910ad1dae1:
	.byte	0                               ; 0x0
	.size	__hip_cuid_39e015910ad1dae1, 1

	.ident	"AMD clang version 19.0.0git (https://github.com/RadeonOpenCompute/llvm-project roc-6.4.0 25133 c7fe45cf4b819c5991fe208aaa96edf142730f1d)"
	.section	".note.GNU-stack","",@progbits
	.addrsig
	.addrsig_sym __hip_cuid_39e015910ad1dae1
	.amdgpu_metadata
---
amdhsa.kernels:
  - .args:
      - .offset:         0
        .size:           4
        .value_kind:     by_value
      - .offset:         4
        .size:           4
        .value_kind:     by_value
      - .actual_access:  write_only
        .address_space:  global
        .offset:         8
        .size:           8
        .value_kind:     global_buffer
    .group_segment_fixed_size: 0
    .kernarg_segment_align: 8
    .kernarg_segment_size: 16
    .language:       OpenCL C
    .language_version:
      - 2
      - 0
    .max_flat_workgroup_size: 1024
    .name:           gridwise_generic_reduce_2_prepare
    .private_segment_fixed_size: 0
    .sgpr_count:     5
    .sgpr_spill_count: 0
    .symbol:         gridwise_generic_reduce_2_prepare.kd
    .uniform_work_group_size: 1
    .uses_dynamic_stack: false
    .vgpr_count:     5
    .vgpr_spill_count: 0
    .wavefront_size: 32
    .workgroup_processor_mode: 1
  - .args:
      - .offset:         0
        .size:           4
        .value_kind:     by_value
      - .offset:         4
        .size:           4
        .value_kind:     by_value
      - .actual_access:  read_only
        .address_space:  global
        .offset:         8
        .size:           8
        .value_kind:     global_buffer
      - .offset:         16
        .size:           4
        .value_kind:     by_value
      - .address_space:  global
        .offset:         24
        .size:           8
        .value_kind:     global_buffer
      - .address_space:  constant
        .offset:         32
        .size:           8
        .value_kind:     global_buffer
      - .offset:         40
        .size:           8
        .value_kind:     by_value
      - .actual_access:  read_only
        .address_space:  global
        .offset:         48
        .size:           8
        .value_kind:     global_buffer
    .group_segment_fixed_size: 0
    .kernarg_segment_align: 8
    .kernarg_segment_size: 56
    .language:       OpenCL C
    .language_version:
      - 2
      - 0
    .max_flat_workgroup_size: 1024
    .name:           gridwise_generic_reduce_2
    .private_segment_fixed_size: 0
    .sgpr_count:     18
    .sgpr_spill_count: 0
    .symbol:         gridwise_generic_reduce_2.kd
    .uniform_work_group_size: 1
    .uses_dynamic_stack: false
    .vgpr_count:     11
    .vgpr_spill_count: 0
    .wavefront_size: 32
    .workgroup_processor_mode: 1
amdhsa.target:   amdgcn-amd-amdhsa--gfx1100
amdhsa.version:
  - 1
  - 2
...

	.end_amdgpu_metadata
